;; amdgpu-corpus repo=ROCm/rocFFT kind=compiled arch=gfx1030 opt=O3
	.text
	.amdgcn_target "amdgcn-amd-amdhsa--gfx1030"
	.amdhsa_code_object_version 6
	.protected	bluestein_single_back_len198_dim1_sp_op_CI_CI ; -- Begin function bluestein_single_back_len198_dim1_sp_op_CI_CI
	.globl	bluestein_single_back_len198_dim1_sp_op_CI_CI
	.p2align	8
	.type	bluestein_single_back_len198_dim1_sp_op_CI_CI,@function
bluestein_single_back_len198_dim1_sp_op_CI_CI: ; @bluestein_single_back_len198_dim1_sp_op_CI_CI
; %bb.0:
	s_load_dwordx4 s[0:3], s[4:5], 0x28
	v_mul_u32_u24_e32 v1, 0xba3, v0
	v_lshrrev_b32_e32 v1, 16, v1
	v_mad_u64_u32 v[36:37], null, s6, 5, v[1:2]
	v_mov_b32_e32 v37, 0
                                        ; kill: def $vgpr2 killed $sgpr0 killed $exec
	s_waitcnt lgkmcnt(0)
	v_cmp_gt_u64_e32 vcc_lo, s[0:1], v[36:37]
	s_and_saveexec_b32 s0, vcc_lo
	s_cbranch_execz .LBB0_23
; %bb.1:
	v_mul_hi_u32 v2, 0xcccccccd, v36
	s_clause 0x1
	s_load_dwordx2 s[14:15], s[4:5], 0x0
	s_load_dwordx2 s[12:13], s[4:5], 0x38
	v_mul_lo_u16 v1, v1, 22
	v_sub_nc_u16 v0, v0, v1
	v_lshrrev_b32_e32 v2, 2, v2
	v_and_b32_e32 v53, 0xffff, v0
	v_lshl_add_u32 v2, v2, 2, v2
	v_cmp_gt_u16_e32 vcc_lo, 18, v0
	v_lshlrev_b32_e32 v54, 3, v53
	v_sub_nc_u32_e32 v1, v36, v2
	v_mul_u32_u24_e32 v28, 0xc6, v1
	v_lshlrev_b32_e32 v55, 3, v28
	s_and_saveexec_b32 s1, vcc_lo
	s_cbranch_execz .LBB0_3
; %bb.2:
	s_load_dwordx2 s[6:7], s[4:5], 0x18
	v_lshl_add_u32 v35, v53, 3, v55
	v_add_nc_u32_e32 v49, v55, v54
	s_waitcnt lgkmcnt(0)
	s_load_dwordx4 s[8:11], s[6:7], 0x0
	s_waitcnt lgkmcnt(0)
	v_mad_u64_u32 v[0:1], null, s10, v36, 0
	v_mad_u64_u32 v[2:3], null, s8, v53, 0
	s_mul_i32 s6, s9, 0x90
	s_mul_hi_u32 s7, s8, 0x90
	s_add_i32 s7, s7, s6
	v_mad_u64_u32 v[4:5], null, s11, v36, v[1:2]
	v_mad_u64_u32 v[5:6], null, s9, v53, v[3:4]
	v_mov_b32_e32 v1, v4
	v_lshlrev_b64 v[0:1], 3, v[0:1]
	v_mov_b32_e32 v3, v5
	s_clause 0x8
	global_load_dwordx2 v[4:5], v54, s[14:15]
	global_load_dwordx2 v[6:7], v54, s[14:15] offset:144
	global_load_dwordx2 v[8:9], v54, s[14:15] offset:288
	;; [unrolled: 1-line block ×8, first 2 shown]
	v_lshlrev_b64 v[2:3], 3, v[2:3]
	v_add_co_u32 v0, s0, s2, v0
	v_add_co_ci_u32_e64 v1, s0, s3, v1, s0
	s_mul_i32 s2, s8, 0x90
	v_add_co_u32 v0, s0, v0, v2
	v_add_co_ci_u32_e64 v1, s0, v1, v3, s0
	v_add_co_u32 v2, s0, v0, s2
	v_add_co_ci_u32_e64 v3, s0, s7, v1, s0
	global_load_dwordx2 v[0:1], v[0:1], off
	v_add_co_u32 v20, s0, v2, s2
	v_add_co_ci_u32_e64 v21, s0, s7, v3, s0
	v_add_co_u32 v22, s0, v20, s2
	v_add_co_ci_u32_e64 v23, s0, s7, v21, s0
	;; [unrolled: 2-line block ×3, first 2 shown]
	s_clause 0x2
	global_load_dwordx2 v[2:3], v[2:3], off
	global_load_dwordx2 v[20:21], v[20:21], off
	;; [unrolled: 1-line block ×3, first 2 shown]
	v_add_co_u32 v29, s0, v26, s2
	v_add_co_ci_u32_e64 v30, s0, s7, v27, s0
	global_load_dwordx2 v[26:27], v[26:27], off
	v_add_co_u32 v31, s0, v29, s2
	v_add_co_ci_u32_e64 v32, s0, s7, v30, s0
	global_load_dwordx2 v[29:30], v[29:30], off
	;; [unrolled: 3-line block ×6, first 2 shown]
	s_clause 0x1
	global_load_dwordx2 v[43:44], v54, s[14:15] offset:1296
	global_load_dwordx2 v[45:46], v54, s[14:15] offset:1440
	global_load_dwordx2 v[41:42], v[41:42], off
	s_waitcnt vmcnt(12)
	v_mul_f32_e32 v47, v1, v5
	v_mul_f32_e32 v5, v0, v5
	v_fmac_f32_e32 v47, v0, v4
	v_fma_f32 v48, v1, v4, -v5
	ds_write_b64 v35, v[47:48]
	s_waitcnt vmcnt(11)
	v_mul_f32_e32 v0, v3, v7
	v_mul_f32_e32 v1, v2, v7
	s_waitcnt vmcnt(10)
	v_mul_f32_e32 v4, v21, v9
	v_mul_f32_e32 v5, v20, v9
	v_fmac_f32_e32 v0, v2, v6
	s_waitcnt vmcnt(9)
	v_mul_f32_e32 v2, v23, v11
	v_fma_f32 v1, v3, v6, -v1
	v_mul_f32_e32 v3, v22, v11
	s_waitcnt vmcnt(8)
	v_mul_f32_e32 v6, v27, v13
	v_mul_f32_e32 v7, v26, v13
	v_fmac_f32_e32 v4, v20, v8
	v_fma_f32 v5, v21, v8, -v5
	s_waitcnt vmcnt(7)
	v_mul_f32_e32 v8, v30, v15
	v_mul_f32_e32 v9, v29, v15
	v_fmac_f32_e32 v2, v22, v10
	v_fma_f32 v3, v23, v10, -v3
	v_fmac_f32_e32 v6, v26, v12
	v_fma_f32 v7, v27, v12, -v7
	s_waitcnt vmcnt(6)
	v_mul_f32_e32 v10, v32, v17
	v_mul_f32_e32 v11, v31, v17
	v_fmac_f32_e32 v8, v29, v14
	s_waitcnt vmcnt(5)
	v_mul_f32_e32 v12, v34, v19
	v_mul_f32_e32 v13, v33, v19
	v_fma_f32 v9, v30, v14, -v9
	v_fmac_f32_e32 v10, v31, v16
	v_fma_f32 v11, v32, v16, -v11
	s_waitcnt vmcnt(4)
	v_mul_f32_e32 v14, v38, v25
	v_mul_f32_e32 v15, v37, v25
	v_fmac_f32_e32 v12, v33, v18
	v_fma_f32 v13, v34, v18, -v13
	s_waitcnt vmcnt(2)
	v_mul_f32_e32 v16, v40, v44
	v_mul_f32_e32 v17, v39, v44
	s_waitcnt vmcnt(0)
	v_mul_f32_e32 v18, v42, v46
	v_mul_f32_e32 v19, v41, v46
	v_fmac_f32_e32 v14, v37, v24
	v_fma_f32 v15, v38, v24, -v15
	v_fmac_f32_e32 v16, v39, v43
	v_fma_f32 v17, v40, v43, -v17
	;; [unrolled: 2-line block ×3, first 2 shown]
	ds_write2_b64 v49, v[0:1], v[4:5] offset0:18 offset1:36
	ds_write2_b64 v49, v[2:3], v[6:7] offset0:54 offset1:72
	;; [unrolled: 1-line block ×5, first 2 shown]
.LBB0_3:
	s_or_b32 exec_lo, exec_lo, s1
	v_mov_b32_e32 v8, 0
	v_mov_b32_e32 v9, 0
	s_waitcnt lgkmcnt(0)
	s_barrier
	buffer_gl0_inv
                                        ; implicit-def: $vgpr18
                                        ; implicit-def: $vgpr14
                                        ; implicit-def: $vgpr0
                                        ; implicit-def: $vgpr22
                                        ; implicit-def: $vgpr26
	s_and_saveexec_b32 s0, vcc_lo
	s_cbranch_execz .LBB0_5
; %bb.4:
	v_lshl_add_u32 v0, v28, 3, v54
	ds_read2_b64 v[8:11], v0 offset1:18
	ds_read2_b64 v[24:27], v0 offset0:36 offset1:54
	ds_read2_b64 v[20:23], v0 offset0:72 offset1:90
	;; [unrolled: 1-line block ×4, first 2 shown]
	ds_read_b64 v[0:1], v0 offset:1440
.LBB0_5:
	s_or_b32 exec_lo, exec_lo, s0
	s_waitcnt lgkmcnt(0)
	v_sub_f32_e32 v52, v10, v0
	v_add_f32_e32 v30, v1, v11
	v_sub_f32_e32 v63, v24, v14
	v_add_f32_e32 v32, v15, v25
	v_sub_f32_e32 v64, v26, v12
	v_mul_f32_e32 v40, 0xbf0a6770, v52
	v_sub_f32_e32 v50, v11, v1
	v_mul_f32_e32 v42, 0xbf68dda4, v63
	v_add_f32_e32 v34, v13, v27
	v_mul_f32_e32 v45, 0xbf7d64f0, v64
	v_fma_f32 v3, 0x3f575c64, v30, -v40
	v_sub_f32_e32 v70, v20, v18
	v_fma_f32 v5, 0x3ed4b147, v32, -v42
	v_add_f32_e32 v29, v0, v10
	v_mul_f32_e32 v37, 0xbf0a6770, v50
	v_add_f32_e32 v3, v3, v9
	v_sub_f32_e32 v51, v25, v15
	v_add_f32_e32 v38, v19, v21
	v_mul_f32_e32 v47, 0xbf4178ce, v70
	v_add_f32_e32 v31, v14, v24
	v_add_f32_e32 v3, v5, v3
	v_fma_f32 v5, 0xbe11bafb, v34, -v45
	v_fmamk_f32 v2, v29, 0x3f575c64, v37
	v_mul_f32_e32 v39, 0xbf68dda4, v51
	v_sub_f32_e32 v62, v27, v13
	v_mul_f32_e32 v57, 0xbf68dda4, v50
	v_add_f32_e32 v3, v5, v3
	v_fma_f32 v5, 0xbf27a4f4, v38, -v47
	v_add_f32_e32 v2, v2, v8
	v_fmamk_f32 v4, v31, 0x3ed4b147, v39
	v_add_f32_e32 v33, v12, v26
	v_mul_f32_e32 v44, 0xbf7d64f0, v62
	v_sub_f32_e32 v69, v21, v19
	v_add_f32_e32 v3, v5, v3
	v_fmamk_f32 v5, v29, 0x3ed4b147, v57
	v_mul_f32_e32 v59, 0xbf4178ce, v51
	v_add_f32_e32 v2, v4, v2
	v_fmamk_f32 v4, v33, 0xbe11bafb, v44
	v_add_f32_e32 v35, v18, v20
	v_mul_f32_e32 v46, 0xbf4178ce, v69
	v_sub_f32_e32 v71, v23, v17
	v_add_f32_e32 v5, v5, v8
	v_fmamk_f32 v56, v31, 0xbf27a4f4, v59
	v_mul_f32_e32 v60, 0x3e903f40, v62
	v_add_f32_e32 v2, v4, v2
	v_fmamk_f32 v4, v35, 0xbf27a4f4, v46
	v_add_f32_e32 v41, v16, v22
	v_mul_f32_e32 v48, 0xbe903f40, v71
	v_mul_f32_e32 v67, 0xbf68dda4, v52
	v_add_f32_e32 v5, v56, v5
	v_fmamk_f32 v56, v33, 0xbf75a155, v60
	v_mul_f32_e32 v61, 0x3f7d64f0, v69
	v_add_f32_e32 v2, v4, v2
	v_fmamk_f32 v4, v41, 0xbf75a155, v48
	v_fma_f32 v7, 0x3ed4b147, v30, -v67
	v_mul_f32_e32 v68, 0xbf4178ce, v63
	v_add_f32_e32 v5, v56, v5
	v_fmamk_f32 v56, v35, 0xbe11bafb, v61
	v_mul_f32_e32 v75, 0xbf7d64f0, v50
	v_mul_f32_e32 v82, 0xbf7d64f0, v52
	v_add_f32_e32 v7, v7, v9
	v_fma_f32 v58, 0xbf27a4f4, v32, -v68
	v_mul_f32_e32 v65, 0x3e903f40, v64
	v_add_f32_e32 v2, v4, v2
	v_add_f32_e32 v4, v56, v5
	v_fmamk_f32 v5, v29, 0xbe11bafb, v75
	v_mul_f32_e32 v76, 0x3e903f40, v51
	v_fma_f32 v74, 0xbe11bafb, v30, -v82
	v_mul_f32_e32 v83, 0x3e903f40, v63
	v_add_f32_e32 v7, v58, v7
	v_fma_f32 v58, 0xbf75a155, v34, -v65
	v_mul_f32_e32 v66, 0x3f7d64f0, v70
	v_add_f32_e32 v5, v5, v8
	v_fmamk_f32 v56, v31, 0xbf75a155, v76
	v_mul_f32_e32 v78, 0x3f68dda4, v62
	v_add_f32_e32 v74, v74, v9
	v_fma_f32 v79, 0xbf75a155, v32, -v83
	v_mul_f32_e32 v81, 0x3f68dda4, v64
	v_sub_f32_e32 v73, v22, v16
	v_add_f32_e32 v7, v58, v7
	v_fma_f32 v58, 0xbe11bafb, v38, -v66
	v_add_f32_e32 v5, v56, v5
	v_fmamk_f32 v56, v33, 0x3ed4b147, v78
	v_mul_f32_e32 v77, 0xbf0a6770, v69
	v_add_f32_e32 v79, v79, v74
	v_fma_f32 v85, 0x3ed4b147, v34, -v81
	v_mul_f32_e32 v80, 0xbf0a6770, v70
	s_clause 0x1
	s_load_dwordx2 s[6:7], s[4:5], 0x20
	s_load_dwordx2 s[2:3], s[4:5], 0x8
	v_add_f32_e32 v43, v17, v23
	v_mul_f32_e32 v49, 0xbe903f40, v73
	v_add_f32_e32 v7, v58, v7
	v_mul_f32_e32 v58, 0x3f0a6770, v71
	v_mul_f32_e32 v72, 0x3f0a6770, v73
	v_add_f32_e32 v5, v56, v5
	v_fmamk_f32 v56, v35, 0x3f575c64, v77
	v_mul_f32_e32 v74, 0xbf4178ce, v71
	v_add_f32_e32 v85, v85, v79
	v_fma_f32 v86, 0x3f575c64, v38, -v80
	v_mul_f32_e32 v79, 0xbf4178ce, v73
	v_fma_f32 v6, 0xbf75a155, v43, -v49
	v_fmamk_f32 v84, v41, 0x3f575c64, v58
	v_fma_f32 v87, 0x3f575c64, v43, -v72
	v_add_f32_e32 v5, v56, v5
	v_fmamk_f32 v56, v41, 0xbf27a4f4, v74
	v_add_f32_e32 v85, v86, v85
	v_fma_f32 v86, 0xbf27a4f4, v43, -v79
	v_add_f32_e32 v3, v6, v3
	v_add_f32_e32 v6, v84, v4
	;; [unrolled: 1-line block ×5, first 2 shown]
	v_mul_lo_u16 v56, v53, 11
	s_waitcnt lgkmcnt(0)
	s_barrier
	buffer_gl0_inv
	s_and_saveexec_b32 s0, vcc_lo
	s_cbranch_execz .LBB0_7
; %bb.6:
	v_mul_f32_e32 v84, 0xbf75a155, v30
	v_mul_f32_e32 v86, 0xbe903f40, v50
	;; [unrolled: 1-line block ×5, first 2 shown]
	v_fmamk_f32 v89, v52, 0x3e903f40, v84
	v_fmamk_f32 v93, v29, 0xbf75a155, v86
	v_mul_f32_e32 v90, 0xbf4178ce, v62
	v_fmamk_f32 v92, v63, 0xbf0a6770, v85
	v_fmamk_f32 v95, v31, 0x3f575c64, v87
	v_add_f32_e32 v89, v89, v9
	v_add_f32_e32 v93, v93, v8
	v_mul_f32_e32 v91, 0x3ed4b147, v38
	v_fmamk_f32 v96, v64, 0x3f4178ce, v88
	v_fmac_f32_e32 v84, 0xbe903f40, v52
	v_add_f32_e32 v89, v92, v89
	v_fmamk_f32 v92, v33, 0xbf27a4f4, v90
	v_add_f32_e32 v93, v95, v93
	v_fmamk_f32 v97, v70, 0xbf68dda4, v91
	v_fmac_f32_e32 v85, 0x3f0a6770, v63
	v_add_f32_e32 v89, v96, v89
	v_add_f32_e32 v84, v84, v9
	;; [unrolled: 1-line block ×3, first 2 shown]
	v_fma_f32 v86, 0xbf75a155, v29, -v86
	v_mul_f32_e32 v93, 0xbe11bafb, v43
	v_add_f32_e32 v89, v97, v89
	v_add_f32_e32 v84, v85, v84
	v_fmac_f32_e32 v88, 0xbf4178ce, v64
	v_add_f32_e32 v85, v86, v8
	v_fma_f32 v86, 0x3f575c64, v31, -v87
	v_fmamk_f32 v87, v73, 0x3f7d64f0, v93
	v_mul_f32_e32 v94, 0x3f68dda4, v69
	v_add_f32_e32 v84, v88, v84
	v_fmac_f32_e32 v91, 0x3f68dda4, v70
	v_add_f32_e32 v86, v86, v85
	v_add_f32_e32 v85, v87, v89
	v_fma_f32 v87, 0xbf27a4f4, v33, -v90
	v_mul_f32_e32 v88, 0xbf7d64f0, v71
	v_add_f32_e32 v89, v91, v84
	v_fmac_f32_e32 v93, 0xbf7d64f0, v73
	v_mul_f32_e32 v52, 0xbf4178ce, v52
	v_add_f32_e32 v86, v87, v86
	v_fma_f32 v90, 0x3ed4b147, v35, -v94
	v_fmamk_f32 v84, v41, 0xbe11bafb, v88
	v_add_f32_e32 v87, v93, v89
	v_fmamk_f32 v89, v30, 0xbf27a4f4, v52
	v_mul_f32_e32 v63, 0x3f7d64f0, v63
	v_add_f32_e32 v86, v90, v86
	v_fma_f32 v88, 0xbe11bafb, v41, -v88
	v_mul_f32_e32 v90, 0xbf4178ce, v50
	v_add_f32_e32 v50, v89, v9
	v_fmamk_f32 v89, v32, 0xbe11bafb, v63
	v_mul_f32_e32 v64, 0xbf0a6770, v64
	v_add_f32_e32 v86, v88, v86
	v_fma_f32 v88, 0xbf27a4f4, v29, -v90
	v_mul_f32_e32 v91, 0x3f7d64f0, v51
	;; [unrolled: 6-line block ×4, first 2 shown]
	v_mul_f32_e32 v73, 0x3f68dda4, v73
	v_add_f32_e32 v50, v51, v50
	v_mul_f32_e32 v71, 0x3f68dda4, v71
	v_add_f32_e32 v51, v89, v88
	v_fma_f32 v88, 0xbf75a155, v35, -v69
	v_mul_f32_e32 v89, 0xbf75a155, v32
	v_add_f32_e32 v82, v82, v93
	v_fmamk_f32 v93, v43, 0x3ed4b147, v73
	v_fmamk_f32 v95, v35, 0x3ed4b147, v94
	v_add_f32_e32 v88, v88, v51
	v_add_f32_e32 v83, v83, v89
	v_mul_f32_e32 v89, 0xbe11bafb, v29
	v_add_f32_e32 v82, v82, v9
	v_add_f32_e32 v51, v93, v50
	v_mul_f32_e32 v93, 0x3ed4b147, v34
	v_fma_f32 v94, 0x3ed4b147, v41, -v71
	v_sub_f32_e32 v75, v89, v75
	v_add_f32_e32 v82, v83, v82
	v_mul_f32_e32 v83, 0xbf75a155, v31
	v_add_f32_e32 v81, v81, v93
	v_mul_f32_e32 v93, 0x3f575c64, v38
	;; [unrolled: 2-line block ×3, first 2 shown]
	v_sub_f32_e32 v76, v83, v76
	v_mul_f32_e32 v83, 0x3ed4b147, v33
	v_add_f32_e32 v81, v81, v82
	v_add_f32_e32 v80, v80, v93
	v_mul_f32_e32 v82, 0x3ed4b147, v30
	v_add_f32_e32 v75, v76, v75
	v_sub_f32_e32 v76, v83, v78
	v_mul_f32_e32 v83, 0xbf27a4f4, v31
	v_add_f32_e32 v80, v80, v81
	v_mul_f32_e32 v81, 0x3f575c64, v35
	v_add_f32_e32 v67, v67, v82
	v_add_f32_e32 v75, v76, v75
	v_mul_f32_e32 v76, 0xbf27a4f4, v32
	v_mul_f32_e32 v82, 0xbf27a4f4, v43
	v_sub_f32_e32 v77, v81, v77
	v_add_f32_e32 v67, v67, v9
	v_sub_f32_e32 v57, v89, v57
	v_add_f32_e32 v68, v68, v76
	v_add_f32_e32 v79, v79, v82
	;; [unrolled: 1-line block ×3, first 2 shown]
	v_mul_f32_e32 v77, 0xbf75a155, v34
	v_mul_f32_e32 v82, 0xbf75a155, v33
	v_add_f32_e32 v67, v68, v67
	v_sub_f32_e32 v59, v83, v59
	v_add_f32_e32 v57, v57, v8
	v_add_f32_e32 v65, v65, v77
	v_mul_f32_e32 v77, 0xbe11bafb, v38
	v_add_f32_e32 v50, v94, v88
	v_mul_f32_e32 v88, 0x3f575c64, v30
	v_mul_f32_e32 v83, 0xbe11bafb, v35
	v_add_f32_e32 v65, v65, v67
	v_add_f32_e32 v66, v66, v77
	;; [unrolled: 1-line block ×3, first 2 shown]
	v_mul_f32_e32 v59, 0x3f575c64, v43
	v_sub_f32_e32 v60, v82, v60
	v_add_f32_e32 v11, v11, v9
	v_mul_f32_e32 v78, 0x3ed4b147, v32
	v_add_f32_e32 v65, v66, v65
	v_add_f32_e32 v66, v72, v59
	;; [unrolled: 1-line block ×3, first 2 shown]
	v_sub_f32_e32 v61, v83, v61
	v_add_f32_e32 v72, v40, v88
	v_add_f32_e32 v11, v25, v11
	v_add_f32_e32 v10, v10, v8
	v_mul_f32_e32 v76, 0xbe11bafb, v34
	v_add_f32_e32 v57, v61, v57
	v_add_f32_e32 v61, v72, v9
	v_add_f32_e32 v42, v42, v78
	v_add_f32_e32 v11, v27, v11
	v_add_f32_e32 v10, v24, v10
	v_mul_f32_e32 v89, 0xbf27a4f4, v38
	v_add_f32_e32 v92, v95, v92
	v_add_f32_e32 v25, v42, v61
	;; [unrolled: 6-line block ×3, first 2 shown]
	v_add_f32_e32 v25, v47, v89
	v_mul_f32_e32 v92, 0x3f575c64, v29
	v_add_f32_e32 v11, v23, v11
	v_add_f32_e32 v10, v20, v10
	;; [unrolled: 1-line block ×4, first 2 shown]
	v_mul_f32_e32 v93, 0x3ed4b147, v31
	v_sub_f32_e32 v37, v92, v37
	v_add_f32_e32 v17, v17, v11
	v_add_f32_e32 v22, v22, v10
	;; [unrolled: 1-line block ×3, first 2 shown]
	v_fma_f32 v23, 0xbf27a4f4, v30, -v52
	v_fmac_f32_e32 v90, 0xbf27a4f4, v29
	v_mul_f32_e32 v81, 0xbe11bafb, v33
	v_add_f32_e32 v37, v37, v8
	v_sub_f32_e32 v39, v93, v39
	v_add_f32_e32 v17, v19, v17
	v_add_f32_e32 v16, v16, v22
	;; [unrolled: 1-line block ×3, first 2 shown]
	v_fma_f32 v19, 0xbe11bafb, v32, -v63
	v_add_f32_e32 v8, v90, v8
	v_fmac_f32_e32 v91, 0xbe11bafb, v31
	v_mul_f32_e32 v68, 0xbf27a4f4, v35
	v_add_f32_e32 v37, v39, v37
	v_sub_f32_e32 v27, v81, v44
	v_add_f32_e32 v13, v13, v17
	v_add_f32_e32 v16, v18, v16
	v_mul_f32_e32 v77, 0xbf27a4f4, v41
	v_add_f32_e32 v9, v19, v9
	v_fma_f32 v17, 0x3f575c64, v34, -v64
	v_add_f32_e32 v8, v91, v8
	v_fmac_f32_e32 v62, 0x3f575c64, v33
	v_mul_f32_e32 v67, 0xbf75a155, v41
	v_add_f32_e32 v21, v27, v37
	v_sub_f32_e32 v26, v68, v46
	v_add_f32_e32 v13, v15, v13
	v_add_f32_e32 v12, v12, v16
	v_sub_f32_e32 v74, v77, v74
	v_mul_f32_e32 v77, 0x3f575c64, v41
	v_add_f32_e32 v9, v17, v9
	v_fma_f32 v15, 0xbf75a155, v38, -v70
	v_add_f32_e32 v8, v62, v8
	v_fmac_f32_e32 v69, 0xbf75a155, v35
	v_add_f32_e32 v20, v26, v21
	v_sub_f32_e32 v21, v67, v48
	v_add_f32_e32 v1, v1, v13
	v_add_f32_e32 v12, v14, v12
	v_and_b32_e32 v13, 0xffff, v56
	v_sub_f32_e32 v58, v77, v58
	v_add_f32_e32 v9, v15, v9
	v_fma_f32 v14, 0x3ed4b147, v43, -v73
	v_add_f32_e32 v8, v69, v8
	v_fmac_f32_e32 v71, 0x3ed4b147, v41
	v_add_f32_e32 v10, v21, v20
	v_add_f32_e32 v0, v0, v12
	v_add_lshl_u32 v12, v28, v13, 3
	v_add_f32_e32 v60, v79, v80
	v_add_f32_e32 v59, v74, v75
	;; [unrolled: 1-line block ×6, first 2 shown]
	ds_write2_b64 v12, v[0:1], v[10:11] offset1:1
	ds_write2_b64 v12, v[39:40], v[59:60] offset0:2 offset1:3
	ds_write2_b64 v12, v[50:51], v[86:87] offset0:4 offset1:5
	;; [unrolled: 1-line block ×4, first 2 shown]
	ds_write_b64 v12, v[2:3] offset:80
.LBB0_7:
	s_or_b32 exec_lo, exec_lo, s0
	v_add_lshl_u32 v58, v28, v53, 3
	s_waitcnt lgkmcnt(0)
	s_barrier
	buffer_gl0_inv
	v_cmp_gt_u16_e64 s0, 11, v53
	ds_read2_b64 v[8:11], v58 offset1:22
	ds_read2_b64 v[16:19], v58 offset0:99 offset1:121
	ds_read2_b64 v[12:15], v58 offset0:44 offset1:66
	;; [unrolled: 1-line block ×3, first 2 shown]
	s_and_saveexec_b32 s1, s0
	s_cbranch_execz .LBB0_9
; %bb.8:
	ds_read2_b64 v[4:7], v58 offset0:88 offset1:187
.LBB0_9:
	s_or_b32 exec_lo, exec_lo, s1
	v_add_nc_u16 v26, v53, 22
	v_add_nc_u16 v29, v53, 0x42
	v_add_nc_u16 v27, v53, 44
	v_add_nc_u16 v30, v53, 0x58
	v_and_b32_e32 v0, 0xff, v26
	v_and_b32_e32 v24, 0xff, v29
	;; [unrolled: 1-line block ×4, first 2 shown]
	v_mul_lo_u16 v0, 0x75, v0
	v_mul_lo_u16 v24, 0x75, v24
	;; [unrolled: 1-line block ×3, first 2 shown]
	v_lshrrev_b16 v31, 8, v0
	v_mul_lo_u16 v0, 0x75, v25
	v_lshrrev_b16 v33, 8, v24
	v_add_co_u32 v24, s1, v53, -11
	v_lshrrev_b16 v32, 8, v1
	v_sub_nc_u16 v1, v26, v31
	v_add_co_ci_u32_e64 v25, null, 0, -1, s1
	v_lshrrev_b16 v34, 8, v0
	v_sub_nc_u16 v0, v27, v32
	v_lshrrev_b16 v37, 1, v1
	v_cndmask_b32_e64 v1, v25, 0, s0
	v_sub_nc_u16 v35, v29, v33
	v_sub_nc_u16 v25, v30, v34
	v_lshrrev_b16 v38, 1, v0
	v_cndmask_b32_e64 v0, v24, v53, s0
	v_and_b32_e32 v37, 0x7f, v37
	v_lshrrev_b16 v35, 1, v35
	v_lshrrev_b16 v39, 1, v25
	v_and_b32_e32 v38, 0x7f, v38
	v_lshlrev_b64 v[24:25], 3, v[0:1]
	v_add_nc_u16 v31, v37, v31
	v_and_b32_e32 v35, 0x7f, v35
	v_and_b32_e32 v1, 0x7f, v39
	v_add_nc_u16 v32, v38, v32
	v_lshrrev_b16 v31, 3, v31
	v_add_nc_u16 v33, v35, v33
	v_add_nc_u16 v1, v1, v34
	v_add_co_u32 v24, s1, s2, v24
	v_add_co_ci_u32_e64 v25, s1, s3, v25, s1
	v_lshrrev_b16 v1, 3, v1
	v_lshrrev_b16 v32, 3, v32
	v_mul_lo_u16 v34, v31, 11
	v_lshrrev_b16 v33, 3, v33
	global_load_dwordx2 v[41:42], v[24:25], off
	v_mul_lo_u16 v1, v1, 11
	v_mul_lo_u16 v24, v32, 11
	v_sub_nc_u16 v25, v26, v34
	v_mul_lo_u16 v26, v33, 11
	v_mov_b32_e32 v34, 3
	v_sub_nc_u16 v1, v30, v1
	v_sub_nc_u16 v24, v27, v24
	v_cmp_lt_u16_e64 s1, 10, v53
	v_sub_nc_u16 v26, v29, v26
	v_lshlrev_b32_sdwa v27, v34, v25 dst_sel:DWORD dst_unused:UNUSED_PAD src0_sel:DWORD src1_sel:BYTE_0
	v_and_b32_e32 v59, 0xff, v1
	v_lshlrev_b32_sdwa v29, v34, v24 dst_sel:DWORD dst_unused:UNUSED_PAD src0_sel:DWORD src1_sel:BYTE_0
	v_mad_u16 v25, v31, 22, v25
	v_lshlrev_b32_sdwa v30, v34, v26 dst_sel:DWORD dst_unused:UNUSED_PAD src0_sel:DWORD src1_sel:BYTE_0
	s_clause 0x2
	global_load_dwordx2 v[45:46], v27, s[2:3]
	global_load_dwordx2 v[43:44], v29, s[2:3]
	global_load_dwordx2 v[39:40], v30, s[2:3]
	v_lshlrev_b32_e32 v1, 3, v59
	s_load_dwordx4 s[4:7], s[6:7], 0x0
	global_load_dwordx2 v[37:38], v1, s[2:3]
	v_cndmask_b32_e64 v1, 0, 22, s1
	s_waitcnt vmcnt(0) lgkmcnt(0)
	s_barrier
	buffer_gl0_inv
	v_add_nc_u32_e32 v0, v0, v1
	v_mov_b32_e32 v1, 22
	v_add_lshl_u32 v60, v28, v0, 3
	v_mul_u32_u24_sdwa v0, v32, v1 dst_sel:DWORD dst_unused:UNUSED_PAD src0_sel:WORD_0 src1_sel:DWORD
	v_mul_u32_u24_sdwa v1, v33, v1 dst_sel:DWORD dst_unused:UNUSED_PAD src0_sel:WORD_0 src1_sel:DWORD
	v_add_nc_u32_sdwa v0, v0, v24 dst_sel:DWORD dst_unused:UNUSED_PAD src0_sel:DWORD src1_sel:BYTE_0
	v_add_nc_u32_sdwa v1, v1, v26 dst_sel:DWORD dst_unused:UNUSED_PAD src0_sel:DWORD src1_sel:BYTE_0
	v_and_b32_e32 v24, 0xff, v25
	v_add_lshl_u32 v62, v28, v0, 3
	v_add_lshl_u32 v61, v28, v1, 3
	;; [unrolled: 1-line block ×3, first 2 shown]
	v_mul_f32_e32 v27, v17, v42
	v_mul_f32_e32 v29, v16, v42
	v_fma_f32 v16, v16, v41, -v27
	v_fmac_f32_e32 v29, v17, v41
	v_sub_f32_e32 v16, v8, v16
	v_sub_f32_e32 v17, v9, v29
	v_mul_f32_e32 v0, v19, v46
	v_mul_f32_e32 v1, v18, v46
	;; [unrolled: 1-line block ×6, first 2 shown]
	v_fma_f32 v0, v18, v45, -v0
	v_fmac_f32_e32 v1, v19, v45
	v_fma_f32 v18, v20, v43, -v24
	v_mul_f32_e32 v19, v7, v38
	v_mul_f32_e32 v24, v6, v38
	v_fmac_f32_e32 v25, v21, v43
	v_fma_f32 v20, v22, v39, -v26
	v_fmac_f32_e32 v27, v23, v39
	v_fma_f32 v22, v6, v37, -v19
	v_fmac_f32_e32 v24, v7, v37
	v_sub_f32_e32 v6, v10, v0
	v_sub_f32_e32 v7, v11, v1
	;; [unrolled: 1-line block ×6, first 2 shown]
	v_fma_f32 v8, v8, 2.0, -v16
	v_fma_f32 v9, v9, 2.0, -v17
	v_sub_f32_e32 v0, v4, v22
	v_sub_f32_e32 v1, v5, v24
	v_fma_f32 v10, v10, 2.0, -v6
	v_fma_f32 v11, v11, 2.0, -v7
	;; [unrolled: 1-line block ×6, first 2 shown]
	ds_write2_b64 v60, v[8:9], v[16:17] offset1:11
	ds_write2_b64 v63, v[10:11], v[6:7] offset1:11
	;; [unrolled: 1-line block ×4, first 2 shown]
	s_and_saveexec_b32 s1, s0
	s_cbranch_execz .LBB0_11
; %bb.10:
	v_fma_f32 v5, v5, 2.0, -v1
	v_fma_f32 v4, v4, 2.0, -v0
	v_add_lshl_u32 v6, v28, v59, 3
	ds_write2_b64 v6, v[4:5], v[0:1] offset0:176 offset1:187
.LBB0_11:
	s_or_b32 exec_lo, exec_lo, s1
	v_lshlrev_b32_e32 v4, 6, v53
	s_waitcnt lgkmcnt(0)
	s_barrier
	buffer_gl0_inv
	v_lshl_add_u32 v57, v53, 3, v55
	s_clause 0x3
	global_load_dwordx4 v[16:19], v4, s[2:3] offset:88
	global_load_dwordx4 v[12:15], v4, s[2:3] offset:104
	;; [unrolled: 1-line block ×4, first 2 shown]
	ds_read2_b64 v[22:25], v58 offset1:22
	ds_read2_b64 v[26:29], v58 offset0:44 offset1:66
	ds_read2_b64 v[30:33], v58 offset0:88 offset1:110
	;; [unrolled: 1-line block ×3, first 2 shown]
	ds_read_b64 v[20:21], v58 offset:1408
	s_waitcnt vmcnt(3) lgkmcnt(4)
	v_mul_f32_e32 v34, v25, v17
	v_mul_f32_e32 v35, v24, v17
	s_waitcnt lgkmcnt(3)
	v_mul_f32_e32 v51, v27, v19
	v_mul_f32_e32 v52, v26, v19
	s_waitcnt vmcnt(2)
	v_mul_f32_e32 v64, v29, v13
	s_waitcnt lgkmcnt(2)
	v_mul_f32_e32 v66, v31, v15
	v_mul_f32_e32 v67, v30, v15
	s_waitcnt vmcnt(1)
	v_mul_f32_e32 v68, v33, v9
	v_mul_f32_e32 v69, v32, v9
	s_waitcnt vmcnt(0) lgkmcnt(1)
	v_mul_f32_e32 v72, v50, v5
	v_mul_f32_e32 v73, v49, v5
	s_waitcnt lgkmcnt(0)
	v_mul_f32_e32 v74, v21, v7
	v_mul_f32_e32 v75, v20, v7
	;; [unrolled: 1-line block ×5, first 2 shown]
	v_fma_f32 v24, v24, v16, -v34
	v_fmac_f32_e32 v35, v25, v16
	v_fma_f32 v25, v26, v18, -v51
	v_fmac_f32_e32 v52, v27, v18
	v_fma_f32 v26, v28, v12, -v64
	v_fma_f32 v27, v30, v14, -v66
	v_fmac_f32_e32 v67, v31, v14
	v_fma_f32 v28, v32, v8, -v68
	v_fmac_f32_e32 v69, v33, v8
	;; [unrolled: 2-line block ×4, first 2 shown]
	v_fmac_f32_e32 v65, v29, v12
	v_fma_f32 v29, v47, v10, -v70
	v_fmac_f32_e32 v71, v48, v10
	v_add_f32_e32 v30, v24, v20
	v_add_f32_e32 v31, v35, v75
	;; [unrolled: 1-line block ×4, first 2 shown]
	v_sub_f32_e32 v24, v24, v20
	v_sub_f32_e32 v35, v35, v75
	;; [unrolled: 1-line block ×5, first 2 shown]
	v_add_f32_e32 v51, v27, v28
	v_add_f32_e32 v52, v67, v69
	;; [unrolled: 1-line block ×4, first 2 shown]
	v_sub_f32_e32 v25, v25, v21
	v_sub_f32_e32 v26, v26, v29
	;; [unrolled: 1-line block ×3, first 2 shown]
	v_mul_f32_e32 v64, 0x3f248dbb, v24
	v_mul_f32_e32 v65, 0x3f248dbb, v35
	v_fmamk_f32 v66, v30, 0x3f441b7d, v22
	v_fmamk_f32 v68, v31, 0x3f441b7d, v23
	v_mul_f32_e32 v70, 0xbf248dbb, v49
	v_mul_f32_e32 v71, 0xbf248dbb, v50
	v_fmamk_f32 v72, v51, 0x3f441b7d, v22
	v_fmamk_f32 v73, v52, 0x3f441b7d, v23
	v_add_f32_e32 v76, v32, v30
	v_add_f32_e32 v77, v33, v31
	v_mul_f32_e32 v78, 0x3f7c1c5c, v49
	v_mul_f32_e32 v79, 0x3f7c1c5c, v50
	v_fmamk_f32 v80, v32, 0x3f441b7d, v22
	v_fmamk_f32 v81, v33, 0x3f441b7d, v23
	v_fmac_f32_e32 v64, 0x3f7c1c5c, v25
	v_fmac_f32_e32 v65, 0x3f7c1c5c, v48
	v_fmac_f32_e32 v66, 0x3e31d0d4, v32
	v_fmac_f32_e32 v68, 0x3e31d0d4, v33
	v_fmac_f32_e32 v70, 0x3f7c1c5c, v24
	v_fmac_f32_e32 v71, 0x3f7c1c5c, v35
	v_fmac_f32_e32 v72, 0x3e31d0d4, v30
	v_fmac_f32_e32 v73, 0x3e31d0d4, v31
	v_add_f32_e32 v82, v51, v76
	v_add_f32_e32 v83, v52, v77
	v_fma_f32 v78, 0xbf248dbb, v25, -v78
	v_fma_f32 v79, 0xbf248dbb, v48, -v79
	v_add_f32_e32 v76, v34, v76
	v_add_f32_e32 v77, v47, v77
	v_fmac_f32_e32 v80, 0x3e31d0d4, v51
	v_fmac_f32_e32 v81, 0x3e31d0d4, v52
	v_add_f32_e32 v74, v49, v24
	v_add_f32_e32 v75, v50, v35
	;; [unrolled: 1-line block ×4, first 2 shown]
	v_fmac_f32_e32 v64, 0x3f5db3d7, v26
	v_fmac_f32_e32 v65, 0x3f5db3d7, v29
	v_fmac_f32_e32 v66, -0.5, v34
	v_fmac_f32_e32 v68, -0.5, v47
	v_fmac_f32_e32 v70, 0xbf5db3d7, v26
	v_fmac_f32_e32 v71, 0xbf5db3d7, v29
	v_fmac_f32_e32 v72, -0.5, v34
	v_fmac_f32_e32 v73, -0.5, v47
	v_fmac_f32_e32 v78, 0x3f5db3d7, v26
	v_fmac_f32_e32 v79, 0x3f5db3d7, v29
	v_add_f32_e32 v26, v27, v76
	v_add_f32_e32 v27, v67, v77
	v_fmac_f32_e32 v80, -0.5, v34
	v_fmac_f32_e32 v81, -0.5, v47
	v_sub_f32_e32 v74, v74, v25
	v_sub_f32_e32 v75, v75, v48
	v_fmac_f32_e32 v20, -0.5, v82
	v_fmac_f32_e32 v21, -0.5, v83
	v_fmac_f32_e32 v64, 0x3eaf1d44, v49
	v_fmac_f32_e32 v65, 0x3eaf1d44, v50
	;; [unrolled: 1-line block ×10, first 2 shown]
	v_add_f32_e32 v24, v28, v26
	v_add_f32_e32 v25, v69, v27
	v_fmac_f32_e32 v80, 0xbf708fb2, v30
	v_fmac_f32_e32 v81, 0xbf708fb2, v31
	v_mul_f32_e32 v84, 0x3f5db3d7, v74
	v_mul_f32_e32 v85, 0x3f5db3d7, v75
	v_fmac_f32_e32 v20, 0x3f5db3d7, v75
	v_fmac_f32_e32 v21, 0xbf5db3d7, v74
	v_add_f32_e32 v32, v65, v66
	v_sub_f32_e32 v33, v68, v64
	v_add_f32_e32 v34, v71, v72
	v_sub_f32_e32 v35, v73, v70
	v_add_f32_e32 v47, v24, v22
	v_add_f32_e32 v48, v25, v23
	;; [unrolled: 1-line block ×3, first 2 shown]
	v_sub_f32_e32 v23, v81, v78
	v_fma_f32 v30, -2.0, v85, v20
	v_fma_f32 v31, 2.0, v84, v21
	v_fma_f32 v26, -2.0, v65, v32
	v_fma_f32 v27, 2.0, v64, v33
	v_fma_f32 v24, -2.0, v71, v34
	v_fma_f32 v28, -2.0, v79, v22
	v_fma_f32 v29, 2.0, v78, v23
	v_fma_f32 v25, 2.0, v70, v35
	ds_write_b64 v57, v[47:48]
	ds_write2_b64 v57, v[32:33], v[34:35] offset0:22 offset1:44
	ds_write2_b64 v57, v[20:21], v[22:23] offset0:66 offset1:88
	;; [unrolled: 1-line block ×4, first 2 shown]
	s_waitcnt lgkmcnt(0)
	s_barrier
	buffer_gl0_inv
	s_and_saveexec_b32 s1, vcc_lo
	s_cbranch_execz .LBB0_13
; %bb.12:
	global_load_dwordx2 v[49:50], v54, s[14:15] offset:1584
	s_add_u32 s2, s14, 0x630
	s_addc_u32 s3, s15, 0
	s_clause 0x9
	global_load_dwordx2 v[80:81], v54, s[2:3] offset:144
	global_load_dwordx2 v[82:83], v54, s[2:3] offset:288
	;; [unrolled: 1-line block ×10, first 2 shown]
	ds_read_b64 v[51:52], v57
	s_waitcnt vmcnt(10) lgkmcnt(0)
	v_mul_f32_e32 v64, v52, v50
	v_mul_f32_e32 v65, v51, v50
	v_fma_f32 v64, v51, v49, -v64
	v_fmac_f32_e32 v65, v52, v49
	ds_write_b64 v57, v[64:65]
	ds_read2_b64 v[49:52], v57 offset0:18 offset1:36
	ds_read2_b64 v[64:67], v57 offset0:54 offset1:72
	;; [unrolled: 1-line block ×5, first 2 shown]
	s_waitcnt vmcnt(9) lgkmcnt(4)
	v_mul_f32_e32 v101, v50, v81
	v_mul_f32_e32 v100, v49, v81
	s_waitcnt vmcnt(8)
	v_mul_f32_e32 v102, v52, v83
	v_mul_f32_e32 v81, v51, v83
	s_waitcnt vmcnt(7) lgkmcnt(3)
	v_mul_f32_e32 v103, v65, v85
	v_mul_f32_e32 v83, v64, v85
	s_waitcnt vmcnt(6)
	v_mul_f32_e32 v104, v67, v87
	v_mul_f32_e32 v85, v66, v87
	s_waitcnt vmcnt(5) lgkmcnt(2)
	v_mul_f32_e32 v105, v69, v89
	v_mul_f32_e32 v87, v68, v89
	s_waitcnt vmcnt(4)
	v_mul_f32_e32 v106, v71, v91
	v_mul_f32_e32 v89, v70, v91
	s_waitcnt vmcnt(3) lgkmcnt(1)
	v_mul_f32_e32 v107, v73, v93
	v_mul_f32_e32 v91, v72, v93
	s_waitcnt vmcnt(2)
	v_mul_f32_e32 v108, v75, v95
	v_mul_f32_e32 v93, v74, v95
	s_waitcnt vmcnt(1) lgkmcnt(0)
	v_mul_f32_e32 v109, v77, v97
	v_mul_f32_e32 v95, v76, v97
	s_waitcnt vmcnt(0)
	v_mul_f32_e32 v110, v79, v99
	v_mul_f32_e32 v97, v78, v99
	v_fma_f32 v99, v49, v80, -v101
	v_fmac_f32_e32 v100, v50, v80
	v_fma_f32 v80, v51, v82, -v102
	v_fmac_f32_e32 v81, v52, v82
	v_fma_f32 v82, v64, v84, -v103
	v_fmac_f32_e32 v83, v65, v84
	v_fma_f32 v84, v66, v86, -v104
	v_fmac_f32_e32 v85, v67, v86
	v_fma_f32 v86, v68, v88, -v105
	v_fmac_f32_e32 v87, v69, v88
	v_fma_f32 v88, v70, v90, -v106
	v_fmac_f32_e32 v89, v71, v90
	v_fma_f32 v90, v72, v92, -v107
	v_fmac_f32_e32 v91, v73, v92
	v_fma_f32 v92, v74, v94, -v108
	v_fmac_f32_e32 v93, v75, v94
	v_fma_f32 v94, v76, v96, -v109
	v_fmac_f32_e32 v95, v77, v96
	v_fma_f32 v96, v78, v98, -v110
	v_fmac_f32_e32 v97, v79, v98
	ds_write2_b64 v57, v[99:100], v[80:81] offset0:18 offset1:36
	ds_write2_b64 v57, v[82:83], v[84:85] offset0:54 offset1:72
	;; [unrolled: 1-line block ×5, first 2 shown]
.LBB0_13:
	s_or_b32 exec_lo, exec_lo, s1
	s_waitcnt lgkmcnt(0)
	s_barrier
	buffer_gl0_inv
	s_and_saveexec_b32 s1, vcc_lo
	s_cbranch_execz .LBB0_15
; %bb.14:
	ds_read_b64 v[47:48], v57
	ds_read2_b64 v[32:35], v57 offset0:18 offset1:36
	ds_read2_b64 v[20:23], v57 offset0:54 offset1:72
	;; [unrolled: 1-line block ×5, first 2 shown]
.LBB0_15:
	s_or_b32 exec_lo, exec_lo, s1
	s_waitcnt lgkmcnt(0)
	v_sub_f32_e32 v73, v33, v3
	v_add_f32_e32 v78, v3, v33
	v_add_f32_e32 v64, v2, v32
	v_sub_f32_e32 v66, v32, v2
	v_add_f32_e32 v79, v1, v35
	v_mul_f32_e32 v82, 0xbf68dda4, v73
	v_sub_f32_e32 v75, v35, v1
	v_mul_f32_e32 v86, 0x3ed4b147, v78
	v_add_f32_e32 v65, v0, v34
	v_mul_f32_e32 v91, 0xbf7d64f0, v73
	v_fma_f32 v49, 0x3ed4b147, v64, -v82
	v_mul_f32_e32 v93, 0xbe11bafb, v78
	v_mul_f32_e32 v81, 0xbf4178ce, v75
	v_fmamk_f32 v50, v66, 0xbf68dda4, v86
	v_sub_f32_e32 v67, v34, v0
	v_mul_f32_e32 v88, 0xbf27a4f4, v79
	v_add_f32_e32 v83, v27, v21
	v_fma_f32 v51, 0xbe11bafb, v64, -v91
	v_add_f32_e32 v49, v47, v49
	v_fmamk_f32 v52, v66, 0xbf7d64f0, v93
	v_fma_f32 v68, 0xbf27a4f4, v65, -v81
	v_add_f32_e32 v50, v48, v50
	v_fmamk_f32 v70, v67, 0xbf4178ce, v88
	v_sub_f32_e32 v76, v21, v27
	v_mul_f32_e32 v94, 0x3e903f40, v75
	v_mul_f32_e32 v98, 0xbf75a155, v79
	v_sub_f32_e32 v69, v20, v26
	v_mul_f32_e32 v92, 0xbf75a155, v83
	v_add_f32_e32 v51, v47, v51
	v_add_f32_e32 v52, v48, v52
	;; [unrolled: 1-line block ×4, first 2 shown]
	v_mul_f32_e32 v85, 0x3e903f40, v76
	v_fma_f32 v71, 0xbf75a155, v65, -v94
	v_fmamk_f32 v72, v67, 0x3e903f40, v98
	v_add_f32_e32 v50, v70, v50
	v_fmamk_f32 v70, v69, 0x3e903f40, v92
	v_mul_f32_e32 v96, 0x3f68dda4, v76
	v_sub_f32_e32 v77, v23, v25
	v_fma_f32 v74, 0xbf75a155, v68, -v85
	v_add_f32_e32 v51, v71, v51
	v_add_f32_e32 v52, v72, v52
	;; [unrolled: 1-line block ×4, first 2 shown]
	v_fma_f32 v72, 0x3ed4b147, v68, -v96
	v_add_f32_e32 v70, v24, v22
	v_mul_f32_e32 v89, 0x3f7d64f0, v77
	v_mul_f32_e32 v99, 0xbf0a6770, v77
	v_add_f32_e32 v49, v74, v49
	v_mul_f32_e32 v100, 0x3ed4b147, v83
	v_sub_f32_e32 v71, v22, v24
	v_mul_f32_e32 v95, 0xbe11bafb, v87
	v_fma_f32 v80, 0xbe11bafb, v70, -v89
	v_add_f32_e32 v51, v72, v51
	v_fma_f32 v84, 0x3f575c64, v70, -v99
	v_fmamk_f32 v74, v69, 0x3f68dda4, v100
	v_fmamk_f32 v72, v71, 0x3f7d64f0, v95
	v_add_f32_e32 v49, v80, v49
	v_mul_f32_e32 v102, 0x3f575c64, v87
	v_add_f32_e32 v104, v84, v51
	v_sub_f32_e32 v80, v29, v31
	v_add_f32_e32 v84, v31, v29
	v_add_f32_e32 v52, v74, v52
	;; [unrolled: 1-line block ×3, first 2 shown]
	v_fmamk_f32 v51, v71, 0xbf0a6770, v102
	v_add_f32_e32 v72, v30, v28
	v_sub_f32_e32 v74, v28, v30
	v_mul_f32_e32 v90, 0x3f0a6770, v80
	v_mul_f32_e32 v97, 0x3f575c64, v84
	v_mul_f32_e32 v101, 0xbf4178ce, v80
	v_mul_f32_e32 v103, 0xbf27a4f4, v84
	v_add_f32_e32 v105, v51, v52
	v_fma_f32 v51, 0x3f575c64, v72, -v90
	v_fmamk_f32 v52, v74, 0x3f0a6770, v97
	v_fma_f32 v106, 0xbf27a4f4, v72, -v101
	v_fmamk_f32 v107, v74, 0xbf4178ce, v103
	v_add_f32_e32 v51, v51, v49
	v_add_f32_e32 v52, v52, v50
	;; [unrolled: 1-line block ×4, first 2 shown]
	s_barrier
	buffer_gl0_inv
	s_and_saveexec_b32 s1, vcc_lo
	s_cbranch_execz .LBB0_17
; %bb.16:
	v_mul_f32_e32 v104, 0xbe903f40, v66
	v_mul_f32_e32 v106, 0x3f0a6770, v67
	;; [unrolled: 1-line block ×5, first 2 shown]
	v_fmamk_f32 v105, v78, 0xbf75a155, v104
	v_fmamk_f32 v107, v79, 0x3f575c64, v106
	v_mul_f32_e32 v108, 0xbf68dda4, v66
	v_mul_f32_e32 v114, 0xbf75a155, v65
	;; [unrolled: 1-line block ×3, first 2 shown]
	v_add_f32_e32 v105, v48, v105
	v_fma_f32 v131, 0xbf75a155, v64, -v128
	v_mul_f32_e32 v132, 0x3f0a6770, v75
	v_add_f32_e32 v91, v111, v91
	v_mul_f32_e32 v113, 0xbf4178ce, v67
	v_add_f32_e32 v105, v107, v105
	v_fmamk_f32 v107, v83, 0xbf27a4f4, v125
	v_mul_f32_e32 v118, 0x3ed4b147, v68
	v_mul_f32_e32 v133, 0xbf7d64f0, v74
	v_add_f32_e32 v131, v47, v131
	v_fma_f32 v134, 0x3f575c64, v65, -v132
	v_add_f32_e32 v105, v107, v105
	v_fmamk_f32 v107, v87, 0x3ed4b147, v129
	v_mul_f32_e32 v135, 0xbf4178ce, v76
	v_add_f32_e32 v91, v47, v91
	v_add_f32_e32 v94, v114, v94
	v_sub_f32_e32 v86, v86, v108
	v_mul_f32_e32 v117, 0x3e903f40, v69
	v_mul_f32_e32 v122, 0x3f575c64, v70
	v_add_f32_e32 v105, v107, v105
	v_fmamk_f32 v107, v84, 0xbe11bafb, v133
	v_fma_f32 v104, 0xbf75a155, v78, -v104
	v_add_f32_e32 v131, v134, v131
	v_fma_f32 v134, 0xbf27a4f4, v68, -v135
	v_mul_f32_e32 v136, 0x3f68dda4, v77
	v_add_f32_e32 v91, v94, v91
	v_add_f32_e32 v94, v118, v96
	;; [unrolled: 1-line block ×3, first 2 shown]
	v_sub_f32_e32 v88, v88, v113
	v_mul_f32_e32 v110, 0x3ed4b147, v64
	v_mul_f32_e32 v121, 0x3f7d64f0, v71
	v_add_f32_e32 v105, v107, v105
	v_add_f32_e32 v104, v48, v104
	v_fma_f32 v106, 0x3f575c64, v79, -v106
	v_add_f32_e32 v107, v134, v131
	v_fma_f32 v131, 0x3ed4b147, v70, -v136
	v_mul_f32_e32 v134, 0xbf7d64f0, v80
	v_fmac_f32_e32 v128, 0xbf75a155, v64
	v_add_f32_e32 v91, v94, v91
	v_add_f32_e32 v94, v122, v99
	;; [unrolled: 1-line block ×3, first 2 shown]
	v_sub_f32_e32 v88, v92, v117
	v_mul_f32_e32 v112, 0xbf27a4f4, v65
	v_add_f32_e32 v104, v106, v104
	v_fma_f32 v106, 0xbf27a4f4, v83, -v125
	v_add_f32_e32 v107, v131, v107
	v_fma_f32 v125, 0xbe11bafb, v72, -v134
	v_add_f32_e32 v128, v47, v128
	v_fmac_f32_e32 v132, 0x3f575c64, v65
	v_add_f32_e32 v91, v94, v91
	v_add_f32_e32 v82, v110, v82
	;; [unrolled: 1-line block ×3, first 2 shown]
	v_sub_f32_e32 v88, v95, v121
	v_mul_f32_e32 v94, 0x3f575c64, v78
	v_add_f32_e32 v33, v33, v48
	v_mul_f32_e32 v116, 0xbf75a155, v68
	v_mul_f32_e32 v126, 0x3f0a6770, v74
	v_add_f32_e32 v106, v106, v104
	v_mul_f32_e32 v131, 0xbf27a4f4, v78
	v_add_f32_e32 v104, v125, v107
	v_add_f32_e32 v107, v132, v128
	v_fmac_f32_e32 v135, 0xbf27a4f4, v68
	v_add_f32_e32 v78, v47, v82
	v_add_f32_e32 v81, v112, v81
	;; [unrolled: 1-line block ×3, first 2 shown]
	v_fmamk_f32 v86, v66, 0x3f0a6770, v94
	v_mul_f32_e32 v88, 0x3ed4b147, v79
	v_add_f32_e32 v33, v35, v33
	v_add_f32_e32 v32, v32, v47
	v_mul_f32_e32 v128, 0xbe11bafb, v79
	v_add_f32_e32 v132, v135, v107
	v_mul_f32_e32 v135, 0x3f575c64, v83
	v_sub_f32_e32 v79, v97, v126
	v_add_f32_e32 v78, v81, v78
	v_add_f32_e32 v81, v116, v85
	;; [unrolled: 1-line block ×3, first 2 shown]
	v_fmamk_f32 v86, v67, 0x3f68dda4, v88
	v_mul_f32_e32 v83, 0xbe11bafb, v83
	v_add_f32_e32 v21, v21, v33
	v_add_f32_e32 v32, v34, v32
	v_fma_f32 v129, 0x3ed4b147, v87, -v129
	v_add_f32_e32 v79, v79, v82
	v_add_f32_e32 v82, v86, v85
	v_fmamk_f32 v85, v69, 0x3f7d64f0, v83
	v_mul_f32_e32 v86, 0xbf27a4f4, v87
	v_mul_f32_e32 v35, 0xbf0a6770, v73
	v_add_f32_e32 v21, v23, v21
	v_add_f32_e32 v20, v20, v32
	;; [unrolled: 1-line block ×3, first 2 shown]
	v_fma_f32 v129, 0xbe11bafb, v84, -v133
	v_mul_f32_e32 v137, 0x3f7d64f0, v75
	v_add_f32_e32 v82, v85, v82
	v_fmamk_f32 v85, v71, 0x3f4178ce, v86
	v_fmamk_f32 v33, v64, 0x3f575c64, v35
	v_mul_f32_e32 v34, 0xbf68dda4, v75
	v_mul_f32_e32 v75, 0xbf75a155, v84
	v_add_f32_e32 v21, v29, v21
	v_add_f32_e32 v20, v22, v20
	v_add_f32_e32 v107, v129, v106
	v_mul_f32_e32 v129, 0xbf4178ce, v73
	v_add_f32_e32 v73, v85, v82
	v_add_f32_e32 v23, v47, v33
	v_fmamk_f32 v32, v65, 0x3ed4b147, v34
	v_mul_f32_e32 v33, 0xbf7d64f0, v76
	v_fmamk_f32 v22, v74, 0x3e903f40, v75
	v_add_f32_e32 v31, v31, v21
	v_add_f32_e32 v20, v28, v20
	v_fmamk_f32 v125, v66, 0x3f4178ce, v131
	v_add_f32_e32 v23, v32, v23
	v_fmamk_f32 v29, v68, 0xbe11bafb, v33
	v_add_f32_e32 v21, v22, v73
	v_mul_f32_e32 v22, 0xbf4178ce, v77
	v_add_f32_e32 v25, v25, v31
	v_add_f32_e32 v20, v30, v20
	v_fmac_f32_e32 v131, 0xbf4178ce, v66
	v_fmac_f32_e32 v136, 0x3ed4b147, v70
	v_add_f32_e32 v125, v48, v125
	v_fmamk_f32 v133, v67, 0xbf7d64f0, v128
	v_add_f32_e32 v23, v29, v23
	v_fmamk_f32 v28, v70, 0xbf27a4f4, v22
	v_mul_f32_e32 v29, 0xbe903f40, v80
	v_add_f32_e32 v25, v27, v25
	v_add_f32_e32 v20, v24, v20
	;; [unrolled: 1-line block ×3, first 2 shown]
	v_fmac_f32_e32 v128, 0x3f7d64f0, v67
	v_mul_f32_e32 v109, 0xbf7d64f0, v66
	v_add_f32_e32 v106, v136, v132
	v_add_f32_e32 v125, v133, v125
	v_fmamk_f32 v132, v69, 0x3f0a6770, v135
	v_mul_f32_e32 v133, 0xbf75a155, v87
	v_add_f32_e32 v23, v28, v23
	v_fmamk_f32 v27, v72, 0xbf75a155, v29
	v_add_f32_e32 v1, v1, v25
	v_add_f32_e32 v25, v26, v20
	;; [unrolled: 1-line block ×3, first 2 shown]
	v_fmac_f32_e32 v135, 0xbf0a6770, v69
	v_mul_f32_e32 v115, 0x3e903f40, v67
	v_sub_f32_e32 v93, v93, v109
	v_fmac_f32_e32 v134, 0xbe11bafb, v72
	v_fmamk_f32 v136, v64, 0xbf27a4f4, v129
	v_add_f32_e32 v125, v132, v125
	v_fmamk_f32 v132, v71, 0x3e903f40, v133
	v_add_f32_e32 v20, v27, v23
	v_fma_f32 v23, 0xbf27a4f4, v64, -v129
	v_add_f32_e32 v1, v3, v1
	v_add_f32_e32 v0, v0, v25
	;; [unrolled: 1-line block ×3, first 2 shown]
	v_fmac_f32_e32 v133, 0xbe903f40, v71
	v_mul_f32_e32 v119, 0x3f68dda4, v69
	v_add_f32_e32 v93, v48, v93
	v_sub_f32_e32 v98, v98, v115
	v_add_f32_e32 v106, v134, v106
	v_add_f32_e32 v134, v47, v136
	v_fmamk_f32 v136, v65, 0xbe11bafb, v137
	v_mul_f32_e32 v138, 0xbf0a6770, v76
	v_add_f32_e32 v23, v47, v23
	v_fma_f32 v24, 0xbe11bafb, v65, -v137
	v_add_f32_e32 v0, v2, v0
	v_fmac_f32_e32 v94, 0xbf0a6770, v66
	v_add_f32_e32 v2, v133, v3
	v_fma_f32 v3, 0x3f575c64, v64, -v35
	v_mul_f32_e32 v123, 0xbf0a6770, v71
	v_add_f32_e32 v93, v98, v93
	v_sub_f32_e32 v98, v100, v119
	v_add_f32_e32 v109, v136, v134
	v_mul_f32_e32 v136, 0xbe903f40, v77
	v_add_f32_e32 v23, v24, v23
	v_fma_f32 v24, 0x3f575c64, v68, -v138
	v_add_f32_e32 v25, v48, v94
	v_fmac_f32_e32 v88, 0xbf68dda4, v67
	v_add_f32_e32 v3, v47, v3
	v_fma_f32 v26, 0x3ed4b147, v65, -v34
	v_mul_f32_e32 v120, 0xbe11bafb, v70
	v_mul_f32_e32 v130, 0xbf4178ce, v74
	v_add_f32_e32 v93, v98, v93
	v_sub_f32_e32 v98, v102, v123
	v_fmamk_f32 v134, v68, 0x3f575c64, v138
	v_add_f32_e32 v23, v24, v23
	v_fma_f32 v24, 0xbf75a155, v70, -v136
	v_add_f32_e32 v25, v88, v25
	v_fmac_f32_e32 v83, 0xbf7d64f0, v69
	v_add_f32_e32 v3, v26, v3
	v_fma_f32 v26, 0xbe11bafb, v68, -v33
	v_mul_f32_e32 v124, 0x3f575c64, v72
	v_mul_f32_e32 v127, 0xbf27a4f4, v72
	v_add_f32_e32 v93, v98, v93
	v_sub_f32_e32 v96, v103, v130
	v_add_f32_e32 v78, v81, v78
	v_add_f32_e32 v81, v120, v89
	v_add_f32_e32 v125, v132, v125
	v_mul_f32_e32 v132, 0x3ed4b147, v84
	v_add_f32_e32 v115, v134, v109
	v_fmamk_f32 v134, v70, 0xbf75a155, v136
	v_mul_f32_e32 v111, 0x3f68dda4, v80
	v_add_f32_e32 v23, v24, v23
	v_add_f32_e32 v24, v83, v25
	v_fmac_f32_e32 v86, 0xbf4178ce, v71
	v_add_f32_e32 v3, v26, v3
	v_fma_f32 v22, 0xbf27a4f4, v70, -v22
	v_and_b32_e32 v26, 0xffff, v56
	v_add_f32_e32 v92, v96, v93
	v_add_f32_e32 v93, v127, v101
	v_add_f32_e32 v78, v81, v78
	v_add_f32_e32 v81, v124, v90
	v_fmamk_f32 v139, v74, 0xbf68dda4, v132
	v_add_f32_e32 v100, v134, v115
	v_fmamk_f32 v102, v72, 0x3ed4b147, v111
	v_fmac_f32_e32 v132, 0x3f68dda4, v74
	v_fma_f32 v25, 0x3ed4b147, v72, -v111
	v_add_f32_e32 v24, v86, v24
	v_fmac_f32_e32 v75, 0xbe903f40, v74
	v_add_f32_e32 v22, v22, v3
	v_fma_f32 v27, 0xbf75a155, v72, -v29
	v_lshl_add_u32 v26, v26, 3, v55
	v_add_f32_e32 v91, v93, v91
	v_add_f32_e32 v78, v81, v78
	;; [unrolled: 1-line block ×8, first 2 shown]
	ds_write2_b64 v26, v[0:1], v[20:21] offset1:1
	ds_write2_b64 v26, v[78:79], v[91:92] offset0:2 offset1:3
	ds_write2_b64 v26, v[108:109], v[106:107] offset0:4 offset1:5
	ds_write2_b64 v26, v[104:105], v[2:3] offset0:6 offset1:7
	ds_write2_b64 v26, v[49:50], v[51:52] offset0:8 offset1:9
	ds_write_b64 v26, v[22:23] offset:80
.LBB0_17:
	s_or_b32 exec_lo, exec_lo, s1
	s_waitcnt lgkmcnt(0)
	s_barrier
	buffer_gl0_inv
	ds_read2_b64 v[0:3], v58 offset1:22
	ds_read2_b64 v[28:31], v58 offset0:99 offset1:121
	ds_read2_b64 v[20:23], v58 offset0:44 offset1:66
	;; [unrolled: 1-line block ×3, first 2 shown]
	s_and_saveexec_b32 s1, s0
	s_cbranch_execz .LBB0_19
; %bb.18:
	ds_read_b64 v[49:50], v58 offset:704
	ds_read_b64 v[51:52], v58 offset:1496
.LBB0_19:
	s_or_b32 exec_lo, exec_lo, s1
	s_waitcnt lgkmcnt(2)
	v_mul_f32_e32 v32, v42, v29
	v_mul_f32_e32 v33, v42, v28
	;; [unrolled: 1-line block ×4, first 2 shown]
	s_waitcnt lgkmcnt(0)
	v_mul_f32_e32 v42, v44, v25
	v_fmac_f32_e32 v32, v41, v28
	v_fma_f32 v28, v41, v29, -v33
	v_mul_f32_e32 v29, v44, v24
	v_fmac_f32_e32 v34, v45, v30
	v_fma_f32 v30, v45, v31, -v35
	v_mul_f32_e32 v31, v40, v27
	v_mul_f32_e32 v33, v40, v26
	v_fmac_f32_e32 v42, v43, v24
	v_fma_f32 v29, v43, v25, -v29
	v_sub_f32_e32 v24, v0, v32
	v_fmac_f32_e32 v31, v39, v26
	v_fma_f32 v32, v39, v27, -v33
	v_sub_f32_e32 v25, v1, v28
	v_sub_f32_e32 v26, v2, v34
	;; [unrolled: 1-line block ×7, first 2 shown]
	v_fma_f32 v0, v0, 2.0, -v24
	v_fma_f32 v1, v1, 2.0, -v25
	;; [unrolled: 1-line block ×8, first 2 shown]
	s_barrier
	buffer_gl0_inv
	ds_write2_b64 v60, v[0:1], v[24:25] offset1:11
	ds_write2_b64 v63, v[2:3], v[26:27] offset1:11
	;; [unrolled: 1-line block ×4, first 2 shown]
	s_and_saveexec_b32 s1, s0
	s_cbranch_execz .LBB0_21
; %bb.20:
	v_mul_f32_e32 v0, v38, v51
	v_mul_f32_e32 v2, v38, v52
	v_lshl_add_u32 v20, v59, 3, v55
	v_fma_f32 v0, v37, v52, -v0
	v_fmac_f32_e32 v2, v37, v51
	v_sub_f32_e32 v1, v50, v0
	v_sub_f32_e32 v0, v49, v2
	v_fma_f32 v3, v50, 2.0, -v1
	v_fma_f32 v2, v49, 2.0, -v0
	ds_write2_b64 v20, v[2:3], v[0:1] offset0:176 offset1:187
.LBB0_21:
	s_or_b32 exec_lo, exec_lo, s1
	s_waitcnt lgkmcnt(0)
	s_barrier
	buffer_gl0_inv
	ds_read2_b64 v[0:3], v58 offset1:22
	ds_read2_b64 v[20:23], v58 offset0:44 offset1:66
	ds_read2_b64 v[24:27], v58 offset0:88 offset1:110
	;; [unrolled: 1-line block ×3, first 2 shown]
	ds_read_b64 v[32:33], v58 offset:1408
	s_waitcnt lgkmcnt(4)
	v_mul_f32_e32 v34, v17, v3
	v_mul_f32_e32 v17, v17, v2
	s_waitcnt lgkmcnt(2)
	v_mul_f32_e32 v39, v9, v27
	v_mul_f32_e32 v9, v9, v26
	;; [unrolled: 1-line block ×6, first 2 shown]
	v_fmac_f32_e32 v39, v8, v26
	v_fma_f32 v9, v8, v27, -v9
	s_waitcnt lgkmcnt(0)
	v_mul_f32_e32 v8, v7, v33
	v_mul_f32_e32 v7, v7, v32
	;; [unrolled: 1-line block ×4, first 2 shown]
	v_fmac_f32_e32 v34, v16, v2
	v_fma_f32 v2, v16, v3, -v17
	v_fmac_f32_e32 v37, v12, v22
	v_fma_f32 v12, v12, v23, -v13
	;; [unrolled: 2-line block ×3, first 2 shown]
	v_mul_f32_e32 v14, v5, v31
	v_mul_f32_e32 v5, v5, v30
	v_fmac_f32_e32 v8, v6, v32
	v_fma_f32 v6, v6, v33, -v7
	v_mul_f32_e32 v40, v11, v29
	v_fmac_f32_e32 v35, v18, v20
	v_fma_f32 v3, v18, v21, -v19
	;; [unrolled: 3-line block ×3, first 2 shown]
	v_sub_f32_e32 v15, v34, v8
	v_add_f32_e32 v20, v2, v6
	v_fmac_f32_e32 v40, v10, v28
	v_fma_f32 v7, v10, v29, -v11
	v_sub_f32_e32 v18, v35, v14
	v_sub_f32_e32 v19, v3, v4
	v_mul_f32_e32 v5, 0x3f248dbb, v15
	v_add_f32_e32 v23, v3, v4
	v_sub_f32_e32 v25, v38, v39
	v_fmamk_f32 v3, v20, 0x3f441b7d, v1
	v_add_f32_e32 v28, v13, v9
	v_sub_f32_e32 v16, v2, v6
	v_sub_f32_e32 v21, v37, v40
	;; [unrolled: 1-line block ×3, first 2 shown]
	v_fmac_f32_e32 v5, 0x3f7c1c5c, v18
	v_add_f32_e32 v12, v12, v7
	v_fmac_f32_e32 v3, 0x3e31d0d4, v23
	v_mul_f32_e32 v29, 0xbf248dbb, v25
	v_fmamk_f32 v11, v28, 0x3f441b7d, v1
	v_add_f32_e32 v17, v34, v8
	v_sub_f32_e32 v26, v13, v9
	v_add_f32_e32 v27, v38, v39
	v_mul_f32_e32 v8, 0x3f248dbb, v16
	v_fmac_f32_e32 v5, 0x3f5db3d7, v21
	v_fmac_f32_e32 v3, -0.5, v12
	v_fmac_f32_e32 v29, 0x3f7c1c5c, v15
	v_fmac_f32_e32 v11, 0x3e31d0d4, v20
	v_add_f32_e32 v14, v35, v14
	v_fmamk_f32 v2, v17, 0x3f441b7d, v0
	v_mul_f32_e32 v10, 0xbf248dbb, v26
	v_fmamk_f32 v4, v27, 0x3f441b7d, v0
	v_fmac_f32_e32 v8, 0x3f7c1c5c, v19
	v_fmac_f32_e32 v5, 0x3eaf1d44, v25
	v_fmac_f32_e32 v3, 0xbf708fb2, v28
	v_fmac_f32_e32 v29, 0xbf5db3d7, v21
	v_fmac_f32_e32 v11, -0.5, v12
	v_add_f32_e32 v24, v37, v40
	v_fmac_f32_e32 v2, 0x3e31d0d4, v14
	v_fmac_f32_e32 v10, 0x3f7c1c5c, v16
	;; [unrolled: 1-line block ×4, first 2 shown]
	v_add_f32_e32 v3, v5, v3
	v_fmac_f32_e32 v29, 0x3eaf1d44, v18
	v_fmac_f32_e32 v11, 0xbf708fb2, v23
	v_fmac_f32_e32 v2, -0.5, v24
	v_fmac_f32_e32 v10, 0xbf5db3d7, v22
	v_fmac_f32_e32 v4, -0.5, v24
	v_fmac_f32_e32 v8, 0x3eaf1d44, v26
	v_fma_f32 v7, -2.0, v5, v3
	v_add_f32_e32 v30, v25, v15
	v_add_f32_e32 v5, v29, v11
	;; [unrolled: 1-line block ×3, first 2 shown]
	v_mul_f32_e32 v25, 0x3f7c1c5c, v25
	v_mul_f32_e32 v26, 0x3f7c1c5c, v26
	v_fmac_f32_e32 v2, 0xbf708fb2, v27
	v_fmac_f32_e32 v10, 0x3eaf1d44, v19
	v_fmac_f32_e32 v4, 0xbf708fb2, v14
	v_add_f32_e32 v31, v14, v17
	v_add_f32_e32 v32, v23, v20
	v_fmamk_f32 v14, v14, 0x3f441b7d, v0
	v_fmamk_f32 v23, v23, 0x3f441b7d, v1
	v_sub_f32_e32 v30, v30, v18
	v_sub_f32_e32 v34, v11, v19
	v_fma_f32 v18, 0xbf248dbb, v18, -v25
	v_fma_f32 v19, 0xbf248dbb, v19, -v26
	v_sub_f32_e32 v2, v2, v8
	v_sub_f32_e32 v4, v4, v10
	v_fmac_f32_e32 v14, 0x3e31d0d4, v27
	v_fmac_f32_e32 v23, 0x3e31d0d4, v28
	;; [unrolled: 1-line block ×4, first 2 shown]
	v_add_f32_e32 v21, v24, v31
	v_add_f32_e32 v22, v12, v32
	v_fma_f32 v6, 2.0, v8, v2
	v_fma_f32 v8, 2.0, v10, v4
	v_add_f32_e32 v10, v24, v0
	v_add_f32_e32 v33, v27, v31
	;; [unrolled: 1-line block ×4, first 2 shown]
	v_fmac_f32_e32 v14, -0.5, v24
	v_fmac_f32_e32 v23, -0.5, v12
	v_add_f32_e32 v12, v38, v21
	v_add_f32_e32 v13, v13, v22
	v_fmac_f32_e32 v10, -0.5, v33
	v_fmac_f32_e32 v11, -0.5, v37
	v_fmac_f32_e32 v18, 0x3eaf1d44, v15
	v_fmac_f32_e32 v19, 0x3eaf1d44, v16
	;; [unrolled: 1-line block ×4, first 2 shown]
	v_add_f32_e32 v16, v39, v12
	v_add_f32_e32 v9, v9, v13
	v_mul_f32_e32 v35, 0x3f5db3d7, v30
	v_mul_f32_e32 v33, 0x3f5db3d7, v34
	v_fmac_f32_e32 v10, 0xbf5db3d7, v34
	v_fmac_f32_e32 v11, 0x3f5db3d7, v30
	v_sub_f32_e32 v14, v14, v19
	v_add_f32_e32 v15, v18, v23
	v_add_f32_e32 v0, v16, v0
	;; [unrolled: 1-line block ×3, first 2 shown]
	v_fma_f32 v12, 2.0, v33, v10
	v_fma_f32 v13, -2.0, v35, v11
	v_fma_f32 v16, 2.0, v19, v14
	v_fma_f32 v17, -2.0, v18, v15
	v_fma_f32 v9, -2.0, v29, v5
	ds_write_b64 v57, v[0:1]
	ds_write2_b64 v57, v[2:3], v[4:5] offset0:22 offset1:44
	ds_write2_b64 v57, v[10:11], v[14:15] offset0:66 offset1:88
	;; [unrolled: 1-line block ×4, first 2 shown]
	s_waitcnt lgkmcnt(0)
	s_barrier
	buffer_gl0_inv
	s_and_b32 exec_lo, exec_lo, vcc_lo
	s_cbranch_execz .LBB0_23
; %bb.22:
	s_clause 0xa
	global_load_dwordx2 v[20:21], v54, s[14:15]
	global_load_dwordx2 v[22:23], v54, s[14:15] offset:144
	global_load_dwordx2 v[24:25], v54, s[14:15] offset:288
	;; [unrolled: 1-line block ×10, first 2 shown]
	v_mad_u64_u32 v[0:1], null, s6, v36, 0
	v_mad_u64_u32 v[2:3], null, s4, v53, 0
	ds_read_b64 v[43:44], v57
	ds_read2_b64 v[8:11], v57 offset0:90 offset1:108
	ds_read2_b64 v[12:15], v57 offset0:126 offset1:144
	;; [unrolled: 1-line block ×3, first 2 shown]
	s_mul_i32 s0, s5, 0x90
	s_mul_hi_u32 s1, s4, 0x90
	v_mad_u64_u32 v[4:5], null, s7, v36, v[1:2]
	s_mul_i32 s2, s4, 0x90
	s_add_i32 s3, s1, s0
	s_mov_b32 s0, 0xa052bf5b
	s_mov_b32 s1, 0x3f74afd6
	v_mad_u64_u32 v[5:6], null, s5, v53, v[3:4]
	v_mov_b32_e32 v1, v4
	v_lshlrev_b64 v[0:1], 3, v[0:1]
	v_mov_b32_e32 v3, v5
	ds_read2_b64 v[4:7], v57 offset0:54 offset1:72
	v_lshlrev_b64 v[2:3], 3, v[2:3]
	v_add_co_u32 v0, vcc_lo, s12, v0
	v_add_co_ci_u32_e32 v1, vcc_lo, s13, v1, vcc_lo
	v_add_co_u32 v45, vcc_lo, v0, v2
	v_add_co_ci_u32_e32 v46, vcc_lo, v1, v3, vcc_lo
	ds_read2_b64 v[0:3], v57 offset0:18 offset1:36
	v_add_co_u32 v47, vcc_lo, v45, s2
	v_add_co_ci_u32_e32 v48, vcc_lo, s3, v46, vcc_lo
	v_add_co_u32 v49, vcc_lo, v47, s2
	v_add_co_ci_u32_e32 v50, vcc_lo, s3, v48, vcc_lo
	;; [unrolled: 2-line block ×7, first 2 shown]
	s_waitcnt vmcnt(10) lgkmcnt(5)
	v_mul_f32_e32 v36, v44, v21
	v_mul_f32_e32 v21, v43, v21
	s_waitcnt vmcnt(9) lgkmcnt(0)
	v_mul_f32_e32 v57, v1, v23
	v_mul_f32_e32 v23, v0, v23
	s_waitcnt vmcnt(8)
	v_mul_f32_e32 v62, v3, v25
	v_mul_f32_e32 v25, v2, v25
	s_waitcnt vmcnt(7)
	;; [unrolled: 3-line block ×4, first 2 shown]
	v_mul_f32_e32 v65, v9, v31
	v_mul_f32_e32 v31, v8, v31
	v_fmac_f32_e32 v36, v43, v20
	v_fma_f32 v20, v20, v44, -v21
	s_waitcnt vmcnt(4)
	v_mul_f32_e32 v66, v11, v33
	v_mul_f32_e32 v33, v10, v33
	v_fmac_f32_e32 v57, v0, v22
	v_fma_f32 v21, v22, v1, -v23
	s_waitcnt vmcnt(3)
	;; [unrolled: 5-line block ×4, first 2 shown]
	v_mul_f32_e32 v69, v17, v40
	v_mul_f32_e32 v40, v16, v40
	s_waitcnt vmcnt(0)
	v_mul_f32_e32 v70, v19, v42
	v_mul_f32_e32 v42, v18, v42
	v_fmac_f32_e32 v64, v6, v28
	v_fma_f32 v24, v28, v7, -v29
	v_fmac_f32_e32 v65, v8, v30
	v_fma_f32 v25, v30, v9, -v31
	v_cvt_f64_f32_e32 v[0:1], v36
	v_cvt_f64_f32_e32 v[2:3], v20
	v_fmac_f32_e32 v66, v10, v32
	v_fma_f32 v26, v32, v11, -v33
	v_cvt_f64_f32_e32 v[4:5], v57
	v_cvt_f64_f32_e32 v[6:7], v21
	;; [unrolled: 4-line block ×4, first 2 shown]
	v_fmac_f32_e32 v69, v16, v39
	v_fma_f32 v38, v39, v17, -v40
	v_fmac_f32_e32 v70, v18, v41
	v_fma_f32 v42, v41, v19, -v42
	v_cvt_f64_f32_e32 v[16:17], v64
	v_cvt_f64_f32_e32 v[18:19], v24
	;; [unrolled: 1-line block ×14, first 2 shown]
	v_mul_f64 v[0:1], v[0:1], s[0:1]
	v_mul_f64 v[2:3], v[2:3], s[0:1]
	;; [unrolled: 1-line block ×22, first 2 shown]
	v_cvt_f32_f64_e32 v0, v[0:1]
	v_cvt_f32_f64_e32 v1, v[2:3]
	;; [unrolled: 1-line block ×22, first 2 shown]
	v_add_co_u32 v22, vcc_lo, v60, s2
	v_add_co_ci_u32_e32 v23, vcc_lo, s3, v61, vcc_lo
	v_add_co_u32 v24, vcc_lo, v22, s2
	v_add_co_ci_u32_e32 v25, vcc_lo, s3, v23, vcc_lo
	;; [unrolled: 2-line block ×3, first 2 shown]
	global_store_dwordx2 v[45:46], v[0:1], off
	global_store_dwordx2 v[47:48], v[2:3], off
	;; [unrolled: 1-line block ×11, first 2 shown]
.LBB0_23:
	s_endpgm
	.section	.rodata,"a",@progbits
	.p2align	6, 0x0
	.amdhsa_kernel bluestein_single_back_len198_dim1_sp_op_CI_CI
		.amdhsa_group_segment_fixed_size 7920
		.amdhsa_private_segment_fixed_size 0
		.amdhsa_kernarg_size 104
		.amdhsa_user_sgpr_count 6
		.amdhsa_user_sgpr_private_segment_buffer 1
		.amdhsa_user_sgpr_dispatch_ptr 0
		.amdhsa_user_sgpr_queue_ptr 0
		.amdhsa_user_sgpr_kernarg_segment_ptr 1
		.amdhsa_user_sgpr_dispatch_id 0
		.amdhsa_user_sgpr_flat_scratch_init 0
		.amdhsa_user_sgpr_private_segment_size 0
		.amdhsa_wavefront_size32 1
		.amdhsa_uses_dynamic_stack 0
		.amdhsa_system_sgpr_private_segment_wavefront_offset 0
		.amdhsa_system_sgpr_workgroup_id_x 1
		.amdhsa_system_sgpr_workgroup_id_y 0
		.amdhsa_system_sgpr_workgroup_id_z 0
		.amdhsa_system_sgpr_workgroup_info 0
		.amdhsa_system_vgpr_workitem_id 0
		.amdhsa_next_free_vgpr 140
		.amdhsa_next_free_sgpr 16
		.amdhsa_reserve_vcc 1
		.amdhsa_reserve_flat_scratch 0
		.amdhsa_float_round_mode_32 0
		.amdhsa_float_round_mode_16_64 0
		.amdhsa_float_denorm_mode_32 3
		.amdhsa_float_denorm_mode_16_64 3
		.amdhsa_dx10_clamp 1
		.amdhsa_ieee_mode 1
		.amdhsa_fp16_overflow 0
		.amdhsa_workgroup_processor_mode 1
		.amdhsa_memory_ordered 1
		.amdhsa_forward_progress 0
		.amdhsa_shared_vgpr_count 0
		.amdhsa_exception_fp_ieee_invalid_op 0
		.amdhsa_exception_fp_denorm_src 0
		.amdhsa_exception_fp_ieee_div_zero 0
		.amdhsa_exception_fp_ieee_overflow 0
		.amdhsa_exception_fp_ieee_underflow 0
		.amdhsa_exception_fp_ieee_inexact 0
		.amdhsa_exception_int_div_zero 0
	.end_amdhsa_kernel
	.text
.Lfunc_end0:
	.size	bluestein_single_back_len198_dim1_sp_op_CI_CI, .Lfunc_end0-bluestein_single_back_len198_dim1_sp_op_CI_CI
                                        ; -- End function
	.section	.AMDGPU.csdata,"",@progbits
; Kernel info:
; codeLenInByte = 10164
; NumSgprs: 18
; NumVgprs: 140
; ScratchSize: 0
; MemoryBound: 0
; FloatMode: 240
; IeeeMode: 1
; LDSByteSize: 7920 bytes/workgroup (compile time only)
; SGPRBlocks: 2
; VGPRBlocks: 17
; NumSGPRsForWavesPerEU: 18
; NumVGPRsForWavesPerEU: 140
; Occupancy: 7
; WaveLimiterHint : 1
; COMPUTE_PGM_RSRC2:SCRATCH_EN: 0
; COMPUTE_PGM_RSRC2:USER_SGPR: 6
; COMPUTE_PGM_RSRC2:TRAP_HANDLER: 0
; COMPUTE_PGM_RSRC2:TGID_X_EN: 1
; COMPUTE_PGM_RSRC2:TGID_Y_EN: 0
; COMPUTE_PGM_RSRC2:TGID_Z_EN: 0
; COMPUTE_PGM_RSRC2:TIDIG_COMP_CNT: 0
	.text
	.p2alignl 6, 3214868480
	.fill 48, 4, 3214868480
	.type	__hip_cuid_d3e4b556d995032d,@object ; @__hip_cuid_d3e4b556d995032d
	.section	.bss,"aw",@nobits
	.globl	__hip_cuid_d3e4b556d995032d
__hip_cuid_d3e4b556d995032d:
	.byte	0                               ; 0x0
	.size	__hip_cuid_d3e4b556d995032d, 1

	.ident	"AMD clang version 19.0.0git (https://github.com/RadeonOpenCompute/llvm-project roc-6.4.0 25133 c7fe45cf4b819c5991fe208aaa96edf142730f1d)"
	.section	".note.GNU-stack","",@progbits
	.addrsig
	.addrsig_sym __hip_cuid_d3e4b556d995032d
	.amdgpu_metadata
---
amdhsa.kernels:
  - .args:
      - .actual_access:  read_only
        .address_space:  global
        .offset:         0
        .size:           8
        .value_kind:     global_buffer
      - .actual_access:  read_only
        .address_space:  global
        .offset:         8
        .size:           8
        .value_kind:     global_buffer
      - .actual_access:  read_only
        .address_space:  global
        .offset:         16
        .size:           8
        .value_kind:     global_buffer
      - .actual_access:  read_only
        .address_space:  global
        .offset:         24
        .size:           8
        .value_kind:     global_buffer
      - .actual_access:  read_only
        .address_space:  global
        .offset:         32
        .size:           8
        .value_kind:     global_buffer
      - .offset:         40
        .size:           8
        .value_kind:     by_value
      - .address_space:  global
        .offset:         48
        .size:           8
        .value_kind:     global_buffer
      - .address_space:  global
        .offset:         56
        .size:           8
        .value_kind:     global_buffer
      - .address_space:  global
        .offset:         64
        .size:           8
        .value_kind:     global_buffer
      - .address_space:  global
        .offset:         72
        .size:           8
        .value_kind:     global_buffer
      - .offset:         80
        .size:           4
        .value_kind:     by_value
      - .address_space:  global
        .offset:         88
        .size:           8
        .value_kind:     global_buffer
      - .address_space:  global
        .offset:         96
        .size:           8
        .value_kind:     global_buffer
    .group_segment_fixed_size: 7920
    .kernarg_segment_align: 8
    .kernarg_segment_size: 104
    .language:       OpenCL C
    .language_version:
      - 2
      - 0
    .max_flat_workgroup_size: 110
    .name:           bluestein_single_back_len198_dim1_sp_op_CI_CI
    .private_segment_fixed_size: 0
    .sgpr_count:     18
    .sgpr_spill_count: 0
    .symbol:         bluestein_single_back_len198_dim1_sp_op_CI_CI.kd
    .uniform_work_group_size: 1
    .uses_dynamic_stack: false
    .vgpr_count:     140
    .vgpr_spill_count: 0
    .wavefront_size: 32
    .workgroup_processor_mode: 1
amdhsa.target:   amdgcn-amd-amdhsa--gfx1030
amdhsa.version:
  - 1
  - 2
...

	.end_amdgpu_metadata
